;; amdgpu-corpus repo=ROCm/rocFFT kind=compiled arch=gfx1201 opt=O3
	.text
	.amdgcn_target "amdgcn-amd-amdhsa--gfx1201"
	.amdhsa_code_object_version 6
	.protected	fft_rtc_back_len3072_factors_6_4_4_4_4_2_wgs_256_tpt_256_halfLds_half_ip_CI_unitstride_sbrr_R2C_dirReg ; -- Begin function fft_rtc_back_len3072_factors_6_4_4_4_4_2_wgs_256_tpt_256_halfLds_half_ip_CI_unitstride_sbrr_R2C_dirReg
	.globl	fft_rtc_back_len3072_factors_6_4_4_4_4_2_wgs_256_tpt_256_halfLds_half_ip_CI_unitstride_sbrr_R2C_dirReg
	.p2align	8
	.type	fft_rtc_back_len3072_factors_6_4_4_4_4_2_wgs_256_tpt_256_halfLds_half_ip_CI_unitstride_sbrr_R2C_dirReg,@function
fft_rtc_back_len3072_factors_6_4_4_4_4_2_wgs_256_tpt_256_halfLds_half_ip_CI_unitstride_sbrr_R2C_dirReg: ; @fft_rtc_back_len3072_factors_6_4_4_4_4_2_wgs_256_tpt_256_halfLds_half_ip_CI_unitstride_sbrr_R2C_dirReg
; %bb.0:
	s_clause 0x2
	s_load_b128 s[4:7], s[0:1], 0x0
	s_load_b64 s[8:9], s[0:1], 0x50
	s_load_b64 s[10:11], s[0:1], 0x18
	v_mov_b32_e32 v3, 0
	v_mov_b32_e32 v1, 0
	v_dual_mov_b32 v2, 0 :: v_dual_mov_b32 v5, ttmp9
	s_mov_b32 s3, 0
	s_delay_alu instid0(VALU_DEP_3) | instskip(SKIP_2) | instid1(VALU_DEP_1)
	v_mov_b32_e32 v6, v3
	s_wait_kmcnt 0x0
	v_cmp_lt_u64_e64 s2, s[6:7], 2
	s_and_b32 vcc_lo, exec_lo, s2
	s_cbranch_vccnz .LBB0_8
; %bb.1:
	s_load_b64 s[14:15], s[0:1], 0x10
	v_mov_b32_e32 v1, 0
	v_mov_b32_e32 v2, 0
	s_add_nc_u64 s[12:13], s[10:11], 8
	s_mov_b64 s[16:17], 1
	s_wait_kmcnt 0x0
	s_add_nc_u64 s[14:15], s[14:15], 8
.LBB0_2:                                ; =>This Inner Loop Header: Depth=1
	s_load_b64 s[18:19], s[14:15], 0x0
                                        ; implicit-def: $vgpr7_vgpr8
	s_mov_b32 s2, exec_lo
	s_wait_kmcnt 0x0
	v_or_b32_e32 v4, s19, v6
	s_delay_alu instid0(VALU_DEP_1)
	v_cmpx_ne_u64_e32 0, v[3:4]
	s_wait_alu 0xfffe
	s_xor_b32 s20, exec_lo, s2
	s_cbranch_execz .LBB0_4
; %bb.3:                                ;   in Loop: Header=BB0_2 Depth=1
	s_cvt_f32_u32 s2, s18
	s_cvt_f32_u32 s21, s19
	s_sub_nc_u64 s[24:25], 0, s[18:19]
	s_wait_alu 0xfffe
	s_delay_alu instid0(SALU_CYCLE_1) | instskip(SKIP_1) | instid1(SALU_CYCLE_2)
	s_fmamk_f32 s2, s21, 0x4f800000, s2
	s_wait_alu 0xfffe
	v_s_rcp_f32 s2, s2
	s_delay_alu instid0(TRANS32_DEP_1) | instskip(SKIP_1) | instid1(SALU_CYCLE_2)
	s_mul_f32 s2, s2, 0x5f7ffffc
	s_wait_alu 0xfffe
	s_mul_f32 s21, s2, 0x2f800000
	s_wait_alu 0xfffe
	s_delay_alu instid0(SALU_CYCLE_2) | instskip(SKIP_1) | instid1(SALU_CYCLE_2)
	s_trunc_f32 s21, s21
	s_wait_alu 0xfffe
	s_fmamk_f32 s2, s21, 0xcf800000, s2
	s_cvt_u32_f32 s23, s21
	s_wait_alu 0xfffe
	s_delay_alu instid0(SALU_CYCLE_1) | instskip(SKIP_1) | instid1(SALU_CYCLE_2)
	s_cvt_u32_f32 s22, s2
	s_wait_alu 0xfffe
	s_mul_u64 s[26:27], s[24:25], s[22:23]
	s_wait_alu 0xfffe
	s_mul_hi_u32 s29, s22, s27
	s_mul_i32 s28, s22, s27
	s_mul_hi_u32 s2, s22, s26
	s_mul_i32 s30, s23, s26
	s_wait_alu 0xfffe
	s_add_nc_u64 s[28:29], s[2:3], s[28:29]
	s_mul_hi_u32 s21, s23, s26
	s_mul_hi_u32 s31, s23, s27
	s_add_co_u32 s2, s28, s30
	s_wait_alu 0xfffe
	s_add_co_ci_u32 s2, s29, s21
	s_mul_i32 s26, s23, s27
	s_add_co_ci_u32 s27, s31, 0
	s_wait_alu 0xfffe
	s_add_nc_u64 s[26:27], s[2:3], s[26:27]
	s_wait_alu 0xfffe
	v_add_co_u32 v4, s2, s22, s26
	s_delay_alu instid0(VALU_DEP_1) | instskip(SKIP_1) | instid1(VALU_DEP_1)
	s_cmp_lg_u32 s2, 0
	s_add_co_ci_u32 s23, s23, s27
	v_readfirstlane_b32 s22, v4
	s_wait_alu 0xfffe
	s_delay_alu instid0(VALU_DEP_1)
	s_mul_u64 s[24:25], s[24:25], s[22:23]
	s_wait_alu 0xfffe
	s_mul_hi_u32 s27, s22, s25
	s_mul_i32 s26, s22, s25
	s_mul_hi_u32 s2, s22, s24
	s_mul_i32 s28, s23, s24
	s_wait_alu 0xfffe
	s_add_nc_u64 s[26:27], s[2:3], s[26:27]
	s_mul_hi_u32 s21, s23, s24
	s_mul_hi_u32 s22, s23, s25
	s_wait_alu 0xfffe
	s_add_co_u32 s2, s26, s28
	s_add_co_ci_u32 s2, s27, s21
	s_mul_i32 s24, s23, s25
	s_add_co_ci_u32 s25, s22, 0
	s_wait_alu 0xfffe
	s_add_nc_u64 s[24:25], s[2:3], s[24:25]
	s_wait_alu 0xfffe
	v_add_co_u32 v4, s2, v4, s24
	s_delay_alu instid0(VALU_DEP_1) | instskip(SKIP_1) | instid1(VALU_DEP_1)
	s_cmp_lg_u32 s2, 0
	s_add_co_ci_u32 s2, s23, s25
	v_mul_hi_u32 v13, v5, v4
	s_wait_alu 0xfffe
	v_mad_co_u64_u32 v[7:8], null, v5, s2, 0
	v_mad_co_u64_u32 v[9:10], null, v6, v4, 0
	;; [unrolled: 1-line block ×3, first 2 shown]
	s_delay_alu instid0(VALU_DEP_3) | instskip(SKIP_1) | instid1(VALU_DEP_4)
	v_add_co_u32 v4, vcc_lo, v13, v7
	s_wait_alu 0xfffd
	v_add_co_ci_u32_e32 v7, vcc_lo, 0, v8, vcc_lo
	s_delay_alu instid0(VALU_DEP_2) | instskip(SKIP_1) | instid1(VALU_DEP_2)
	v_add_co_u32 v4, vcc_lo, v4, v9
	s_wait_alu 0xfffd
	v_add_co_ci_u32_e32 v4, vcc_lo, v7, v10, vcc_lo
	s_wait_alu 0xfffd
	v_add_co_ci_u32_e32 v7, vcc_lo, 0, v12, vcc_lo
	s_delay_alu instid0(VALU_DEP_2) | instskip(SKIP_1) | instid1(VALU_DEP_2)
	v_add_co_u32 v4, vcc_lo, v4, v11
	s_wait_alu 0xfffd
	v_add_co_ci_u32_e32 v9, vcc_lo, 0, v7, vcc_lo
	s_delay_alu instid0(VALU_DEP_2) | instskip(SKIP_1) | instid1(VALU_DEP_3)
	v_mul_lo_u32 v10, s19, v4
	v_mad_co_u64_u32 v[7:8], null, s18, v4, 0
	v_mul_lo_u32 v11, s18, v9
	s_delay_alu instid0(VALU_DEP_2) | instskip(NEXT) | instid1(VALU_DEP_2)
	v_sub_co_u32 v7, vcc_lo, v5, v7
	v_add3_u32 v8, v8, v11, v10
	s_delay_alu instid0(VALU_DEP_1) | instskip(SKIP_1) | instid1(VALU_DEP_1)
	v_sub_nc_u32_e32 v10, v6, v8
	s_wait_alu 0xfffd
	v_subrev_co_ci_u32_e64 v10, s2, s19, v10, vcc_lo
	v_add_co_u32 v11, s2, v4, 2
	s_wait_alu 0xf1ff
	v_add_co_ci_u32_e64 v12, s2, 0, v9, s2
	v_sub_co_u32 v13, s2, v7, s18
	v_sub_co_ci_u32_e32 v8, vcc_lo, v6, v8, vcc_lo
	s_wait_alu 0xf1ff
	v_subrev_co_ci_u32_e64 v10, s2, 0, v10, s2
	s_delay_alu instid0(VALU_DEP_3) | instskip(NEXT) | instid1(VALU_DEP_3)
	v_cmp_le_u32_e32 vcc_lo, s18, v13
	v_cmp_eq_u32_e64 s2, s19, v8
	s_wait_alu 0xfffd
	v_cndmask_b32_e64 v13, 0, -1, vcc_lo
	v_cmp_le_u32_e32 vcc_lo, s19, v10
	s_wait_alu 0xfffd
	v_cndmask_b32_e64 v14, 0, -1, vcc_lo
	v_cmp_le_u32_e32 vcc_lo, s18, v7
	;; [unrolled: 3-line block ×3, first 2 shown]
	s_wait_alu 0xfffd
	v_cndmask_b32_e64 v15, 0, -1, vcc_lo
	v_cmp_eq_u32_e32 vcc_lo, s19, v10
	s_wait_alu 0xf1ff
	s_delay_alu instid0(VALU_DEP_2)
	v_cndmask_b32_e64 v7, v15, v7, s2
	s_wait_alu 0xfffd
	v_cndmask_b32_e32 v10, v14, v13, vcc_lo
	v_add_co_u32 v13, vcc_lo, v4, 1
	s_wait_alu 0xfffd
	v_add_co_ci_u32_e32 v14, vcc_lo, 0, v9, vcc_lo
	s_delay_alu instid0(VALU_DEP_3) | instskip(SKIP_2) | instid1(VALU_DEP_3)
	v_cmp_ne_u32_e32 vcc_lo, 0, v10
	s_wait_alu 0xfffd
	v_cndmask_b32_e32 v10, v13, v11, vcc_lo
	v_cndmask_b32_e32 v8, v14, v12, vcc_lo
	v_cmp_ne_u32_e32 vcc_lo, 0, v7
	s_wait_alu 0xfffd
	s_delay_alu instid0(VALU_DEP_2)
	v_dual_cndmask_b32 v7, v4, v10 :: v_dual_cndmask_b32 v8, v9, v8
.LBB0_4:                                ;   in Loop: Header=BB0_2 Depth=1
	s_wait_alu 0xfffe
	s_and_not1_saveexec_b32 s2, s20
	s_cbranch_execz .LBB0_6
; %bb.5:                                ;   in Loop: Header=BB0_2 Depth=1
	v_cvt_f32_u32_e32 v4, s18
	s_sub_co_i32 s20, 0, s18
	s_delay_alu instid0(VALU_DEP_1) | instskip(NEXT) | instid1(TRANS32_DEP_1)
	v_rcp_iflag_f32_e32 v4, v4
	v_mul_f32_e32 v4, 0x4f7ffffe, v4
	s_delay_alu instid0(VALU_DEP_1) | instskip(SKIP_1) | instid1(VALU_DEP_1)
	v_cvt_u32_f32_e32 v4, v4
	s_wait_alu 0xfffe
	v_mul_lo_u32 v7, s20, v4
	s_delay_alu instid0(VALU_DEP_1) | instskip(NEXT) | instid1(VALU_DEP_1)
	v_mul_hi_u32 v7, v4, v7
	v_add_nc_u32_e32 v4, v4, v7
	s_delay_alu instid0(VALU_DEP_1) | instskip(NEXT) | instid1(VALU_DEP_1)
	v_mul_hi_u32 v4, v5, v4
	v_mul_lo_u32 v7, v4, s18
	v_add_nc_u32_e32 v8, 1, v4
	s_delay_alu instid0(VALU_DEP_2) | instskip(NEXT) | instid1(VALU_DEP_1)
	v_sub_nc_u32_e32 v7, v5, v7
	v_subrev_nc_u32_e32 v9, s18, v7
	v_cmp_le_u32_e32 vcc_lo, s18, v7
	s_wait_alu 0xfffd
	s_delay_alu instid0(VALU_DEP_2) | instskip(NEXT) | instid1(VALU_DEP_1)
	v_dual_cndmask_b32 v7, v7, v9 :: v_dual_cndmask_b32 v4, v4, v8
	v_cmp_le_u32_e32 vcc_lo, s18, v7
	s_delay_alu instid0(VALU_DEP_2) | instskip(SKIP_1) | instid1(VALU_DEP_1)
	v_add_nc_u32_e32 v8, 1, v4
	s_wait_alu 0xfffd
	v_dual_cndmask_b32 v7, v4, v8 :: v_dual_mov_b32 v8, v3
.LBB0_6:                                ;   in Loop: Header=BB0_2 Depth=1
	s_wait_alu 0xfffe
	s_or_b32 exec_lo, exec_lo, s2
	s_load_b64 s[20:21], s[12:13], 0x0
	s_delay_alu instid0(VALU_DEP_1)
	v_mul_lo_u32 v4, v8, s18
	v_mul_lo_u32 v11, v7, s19
	v_mad_co_u64_u32 v[9:10], null, v7, s18, 0
	s_add_nc_u64 s[16:17], s[16:17], 1
	s_add_nc_u64 s[12:13], s[12:13], 8
	s_wait_alu 0xfffe
	v_cmp_ge_u64_e64 s2, s[16:17], s[6:7]
	s_add_nc_u64 s[14:15], s[14:15], 8
	s_delay_alu instid0(VALU_DEP_2) | instskip(NEXT) | instid1(VALU_DEP_3)
	v_add3_u32 v4, v10, v11, v4
	v_sub_co_u32 v5, vcc_lo, v5, v9
	s_wait_alu 0xfffd
	s_delay_alu instid0(VALU_DEP_2) | instskip(SKIP_3) | instid1(VALU_DEP_2)
	v_sub_co_ci_u32_e32 v4, vcc_lo, v6, v4, vcc_lo
	s_and_b32 vcc_lo, exec_lo, s2
	s_wait_kmcnt 0x0
	v_mul_lo_u32 v6, s21, v5
	v_mul_lo_u32 v4, s20, v4
	v_mad_co_u64_u32 v[1:2], null, s20, v5, v[1:2]
	s_delay_alu instid0(VALU_DEP_1)
	v_add3_u32 v2, v6, v2, v4
	s_wait_alu 0xfffe
	s_cbranch_vccnz .LBB0_9
; %bb.7:                                ;   in Loop: Header=BB0_2 Depth=1
	v_dual_mov_b32 v5, v7 :: v_dual_mov_b32 v6, v8
	s_branch .LBB0_2
.LBB0_8:
	v_dual_mov_b32 v8, v6 :: v_dual_mov_b32 v7, v5
.LBB0_9:
	s_lshl_b64 s[2:3], s[6:7], 3
	v_or_b32_e32 v4, 0x100, v0
	s_wait_alu 0xfffe
	s_add_nc_u64 s[2:3], s[10:11], s[2:3]
	v_or_b32_e32 v10, 0x300, v0
	s_load_b64 s[2:3], s[2:3], 0x0
	s_load_b64 s[0:1], s[0:1], 0x20
	v_or_b32_e32 v12, 0x200, v0
	v_or_b32_e32 v6, 0x400, v0
	s_wait_kmcnt 0x0
	v_mul_lo_u32 v5, s2, v8
	v_mul_lo_u32 v9, s3, v7
	v_mad_co_u64_u32 v[2:3], null, s2, v7, v[1:2]
	v_cmp_gt_u64_e32 vcc_lo, s[0:1], v[7:8]
	v_cmp_le_u64_e64 s0, s[0:1], v[7:8]
	v_or_b32_e32 v8, 0x500, v0
	s_delay_alu instid0(VALU_DEP_4) | instskip(NEXT) | instid1(VALU_DEP_3)
	v_add3_u32 v3, v9, v3, v5
	s_and_saveexec_b32 s1, s0
	s_wait_alu 0xfffe
	s_xor_b32 s0, exec_lo, s1
; %bb.10:
	v_mov_b32_e32 v1, 0
	v_or_b32_e32 v4, 0x100, v0
	v_or_b32_e32 v10, 0x300, v0
	;; [unrolled: 1-line block ×5, first 2 shown]
	v_mov_b32_e32 v5, v1
	v_mov_b32_e32 v13, v1
	;; [unrolled: 1-line block ×5, first 2 shown]
; %bb.11:
	s_wait_alu 0xfffe
	s_or_saveexec_b32 s1, s0
	v_lshlrev_b64_e32 v[2:3], 2, v[2:3]
	v_lshlrev_b32_e32 v21, 2, v0
	s_wait_alu 0xfffe
	s_xor_b32 exec_lo, exec_lo, s1
	s_cbranch_execz .LBB0_13
; %bb.12:
	s_delay_alu instid0(VALU_DEP_2) | instskip(SKIP_3) | instid1(VALU_DEP_3)
	v_add_co_u32 v1, s0, s8, v2
	s_wait_alu 0xf1ff
	v_add_co_ci_u32_e64 v5, s0, s9, v3, s0
	v_lshlrev_b32_e32 v7, 2, v10
	v_add_co_u32 v13, s0, v1, v21
	v_or_b32_e32 v22, 0x1c00, v21
	s_wait_alu 0xf1ff
	v_add_co_ci_u32_e64 v14, s0, 0, v5, s0
	v_add_co_u32 v15, s0, v1, v7
	v_or_b32_e32 v23, 0x2c00, v21
	s_wait_alu 0xf1ff
	v_add_co_ci_u32_e64 v16, s0, 0, v5, s0
	v_add_co_u32 v17, s0, v1, v22
	s_wait_alu 0xf1ff
	v_add_co_ci_u32_e64 v18, s0, 0, v5, s0
	v_add_co_u32 v19, s0, v1, v23
	s_wait_alu 0xf1ff
	v_add_co_ci_u32_e64 v20, s0, 0, v5, s0
	s_clause 0xb
	global_load_b32 v24, v[13:14], off
	global_load_b32 v25, v[13:14], off offset:1024
	global_load_b32 v26, v[13:14], off offset:2048
	;; [unrolled: 1-line block ×7, first 2 shown]
	global_load_b32 v17, v[17:18], off
	global_load_b32 v18, v[19:20], off
	global_load_b32 v14, v[13:14], off offset:10240
	global_load_b32 v15, v[15:16], off
	v_dual_mov_b32 v1, 0 :: v_dual_add_nc_u32 v16, 0, v21
	v_add_nc_u32_e32 v19, 0, v7
	v_add_nc_u32_e32 v20, 0, v22
	s_delay_alu instid0(VALU_DEP_3)
	v_dual_mov_b32 v5, v1 :: v_dual_add_nc_u32 v22, 0, v23
	v_mov_b32_e32 v13, v1
	v_mov_b32_e32 v11, v1
	;; [unrolled: 1-line block ×4, first 2 shown]
	s_wait_loadcnt 0xa
	ds_store_2addr_stride64_b32 v16, v24, v25 offset1:4
	s_wait_loadcnt 0x8
	ds_store_2addr_stride64_b32 v16, v26, v27 offset0:8 offset1:16
	s_wait_loadcnt 0x6
	ds_store_2addr_stride64_b32 v16, v28, v29 offset0:20 offset1:24
	;; [unrolled: 2-line block ×3, first 2 shown]
	s_wait_loadcnt 0x1
	ds_store_b32 v16, v14 offset:10240
	s_wait_loadcnt 0x0
	ds_store_b32 v19, v15
	ds_store_b32 v20, v17
	;; [unrolled: 1-line block ×3, first 2 shown]
.LBB0_13:
	s_or_b32 exec_lo, exec_lo, s1
	v_add_nc_u32_e32 v22, 0, v21
	global_wb scope:SCOPE_SE
	s_wait_dscnt 0x0
	s_barrier_signal -1
	s_barrier_wait -1
	global_inv scope:SCOPE_SE
	ds_load_2addr_stride64_b32 v[14:15], v22 offset1:4
	ds_load_2addr_stride64_b32 v[16:17], v22 offset0:8 offset1:12
	ds_load_2addr_stride64_b32 v[18:19], v22 offset0:16 offset1:20
	ds_load_2addr_stride64_b32 v[24:25], v22 offset0:24 offset1:28
	ds_load_2addr_stride64_b32 v[26:27], v22 offset0:32 offset1:36
	ds_load_2addr_stride64_b32 v[28:29], v22 offset0:40 offset1:44
	v_mul_i32_i24_e32 v20, 6, v4
	v_mad_u32_u24 v30, v0, 20, v22
	global_wb scope:SCOPE_SE
	s_wait_dscnt 0x0
	s_barrier_signal -1
	s_barrier_wait -1
	v_lshl_add_u32 v23, v20, 2, 0
	global_inv scope:SCOPE_SE
	v_cmp_gt_u32_e64 s0, 0x180, v4
	v_pk_add_f16 v32, v14, v18
	v_pk_add_f16 v31, v17, v25
	;; [unrolled: 1-line block ×4, first 2 shown]
	v_pk_add_f16 v24, v24, v28 neg_lo:[0,1] neg_hi:[0,1]
	v_pk_add_f16 v34, v18, v26
	v_pk_add_f16 v37, v25, v29
	v_pk_add_f16 v25, v25, v29 neg_lo:[0,1] neg_hi:[0,1]
	v_pk_fma_f16 v16, v35, 0.5, v16 op_sel_hi:[1,0,1] neg_lo:[1,0,0] neg_hi:[1,0,0]
	v_pk_add_f16 v29, v31, v29
	v_pk_add_f16 v18, v18, v26 neg_lo:[0,1] neg_hi:[0,1]
	v_pk_fma_f16 v14, v34, 0.5, v14 op_sel_hi:[1,0,1] neg_lo:[1,0,0] neg_hi:[1,0,0]
	v_pk_add_f16 v26, v32, v26
	v_pk_fma_f16 v31, 0x3aee, v24, v16 op_sel:[0,0,1] op_sel_hi:[0,1,0] neg_lo:[0,1,0] neg_hi:[0,1,0]
	v_pk_fma_f16 v16, 0x3aee, v24, v16 op_sel:[0,0,1] op_sel_hi:[0,1,0]
	v_pk_add_f16 v28, v33, v28
	v_pk_fma_f16 v17, v37, 0.5, v17 op_sel_hi:[1,0,1] neg_lo:[1,0,0] neg_hi:[1,0,0]
	v_pk_fma_f16 v32, 0x3aee, v18, v14 op_sel:[0,0,1] op_sel_hi:[0,1,0] neg_lo:[0,1,0] neg_hi:[0,1,0]
	v_pk_mul_f16 v24, 0x3aee, v31 op_sel_hi:[0,1]
	v_lshrrev_b32_e32 v33, 16, v31
	v_lshrrev_b32_e32 v34, 16, v16
	v_mul_f16_e32 v31, -0.5, v31
	v_pk_fma_f16 v14, 0x3aee, v18, v14 op_sel:[0,0,1] op_sel_hi:[0,1,0]
	v_pk_fma_f16 v35, 0xb8003800, v16, v24 op_sel:[0,0,1] op_sel_hi:[1,1,0]
	v_pk_fma_f16 v24, 0xb8003800, v16, v24 op_sel:[0,0,1] op_sel_hi:[1,1,0] neg_lo:[0,0,1] neg_hi:[0,0,1]
	v_mul_f16_e32 v16, 0x3aee, v16
	v_lshrrev_b32_e32 v18, 16, v32
	v_fmac_f16_e32 v31, 0x3aee, v34
	v_pk_add_f16 v37, v26, v28
	v_bfi_b32 v34, 0xffff, v35, v24
	v_fma_f16 v16, v33, 0.5, -v16
	v_pk_add_f16 v26, v26, v28 neg_lo:[0,1] neg_hi:[0,1]
	v_pk_fma_f16 v28, 0x3aee, v25, v17 op_sel:[0,0,1] op_sel_hi:[0,1,0] neg_lo:[0,1,0] neg_hi:[0,1,0]
	v_pk_add_f16 v36, v19, v27
	v_add_f16_e32 v38, v32, v31
	v_pk_add_f16 v34, v14, v34
	v_add_f16_e32 v18, v18, v16
	v_pk_fma_f16 v17, 0x3aee, v25, v17 op_sel:[0,0,1] op_sel_hi:[0,1,0]
	v_pk_mul_f16 v25, 0x3aee, v28 op_sel_hi:[0,1]
	v_pk_add_f16 v20, v15, v19
	v_pk_fma_f16 v15, v36, 0.5, v15 op_sel_hi:[1,0,1] neg_lo:[1,0,0] neg_hi:[1,0,0]
	v_pk_add_f16 v19, v19, v27 neg_lo:[0,1] neg_hi:[0,1]
	v_alignbit_b32 v39, v14, v32, 16
	v_alignbit_b32 v38, v38, v34, 16
	v_pack_b32_f16 v18, v18, v34
	v_alignbit_b32 v14, v32, v14, 16
	v_alignbit_b32 v24, v31, v24, 16
	v_pk_fma_f16 v31, 0xb8003800, v17, v25 op_sel:[0,0,1] op_sel_hi:[1,1,0]
	v_pk_fma_f16 v25, 0xb8003800, v17, v25 op_sel:[0,0,1] op_sel_hi:[1,1,0] neg_lo:[0,0,1] neg_hi:[0,0,1]
	v_lshrrev_b32_e32 v32, 16, v17
	v_mul_f16_e32 v34, -0.5, v28
	v_pk_add_f16 v20, v20, v27
	v_pack_b32_f16 v16, v16, v35
	v_pk_fma_f16 v27, 0x3aee, v19, v15 op_sel:[0,0,1] op_sel_hi:[0,1,0] neg_lo:[0,1,0] neg_hi:[0,1,0]
	v_pk_fma_f16 v19, 0x3aee, v19, v15 op_sel:[0,0,1] op_sel_hi:[0,1,0]
	v_lshrrev_b32_e32 v15, 16, v28
	v_mul_f16_e32 v17, 0x3aee, v17
	v_bfi_b32 v28, 0xffff, v31, v25
	v_fmac_f16_e32 v34, 0x3aee, v32
	v_pk_add_f16 v16, v39, v16 neg_lo:[0,1] neg_hi:[0,1]
	v_pk_add_f16 v14, v14, v24 neg_lo:[0,1] neg_hi:[0,1]
	v_lshrrev_b32_e32 v24, 16, v27
	v_fma_f16 v17, v15, 0.5, -v17
	v_pk_add_f16 v28, v19, v28
	v_add_f16_e32 v15, v27, v34
	ds_store_2addr_b32 v30, v18, v38 offset0:1 offset1:2
	ds_store_2addr_b32 v30, v26, v16 offset0:3 offset1:4
	ds_store_2addr_b32 v30, v37, v14 offset1:5
	v_and_b32_e32 v16, 0xffff, v4
	v_add_f16_e32 v14, v24, v17
	v_and_b32_e32 v24, 0xffff, v12
	v_alignbit_b32 v18, v15, v28, 16
	v_mul_lo_u16 v15, 0xab, v0
	v_mul_u32_u24_e32 v16, 0xaaab, v16
	v_pack_b32_f16 v26, v14, v28
	v_mul_u32_u24_e32 v14, 0xaaab, v24
	v_alignbit_b32 v24, v19, v27, 16
	v_lshrrev_b16 v35, 10, v15
	v_lshrrev_b32_e32 v36, 18, v16
	v_alignbit_b32 v19, v27, v19, 16
	v_lshrrev_b32_e32 v37, 18, v14
	v_pk_add_f16 v33, v20, v29
	v_mul_lo_u16 v28, v35, 6
	v_mul_lo_u16 v27, v36, 6
	v_pk_add_f16 v20, v20, v29 neg_lo:[0,1] neg_hi:[0,1]
	v_pack_b32_f16 v17, v17, v31
	v_alignbit_b32 v25, v34, v25, 16
	v_mul_lo_u16 v29, v37, 6
	v_sub_nc_u16 v28, v0, v28
	v_sub_nc_u16 v34, v4, v27
	v_pk_add_f16 v17, v24, v17 neg_lo:[0,1] neg_hi:[0,1]
	v_pk_add_f16 v19, v19, v25 neg_lo:[0,1] neg_hi:[0,1]
	v_sub_nc_u16 v39, v12, v29
	v_and_b32_e32 v38, 0xff, v28
	ds_store_2addr_b32 v23, v26, v18 offset0:1 offset1:2
	ds_store_2addr_b32 v23, v20, v17 offset0:3 offset1:4
	v_mul_lo_u16 v17, v34, 3
	ds_store_2addr_b32 v23, v33, v19 offset1:5
	v_mul_lo_u16 v19, v39, 3
	v_mul_u32_u24_e32 v18, 3, v38
	global_wb scope:SCOPE_SE
	s_wait_dscnt 0x0
	v_and_b32_e32 v17, 0xffff, v17
	s_barrier_signal -1
	v_and_b32_e32 v20, 0xffff, v19
	v_lshlrev_b32_e32 v18, 2, v18
	s_barrier_wait -1
	v_lshlrev_b32_e32 v24, 2, v17
	global_inv scope:SCOPE_SE
	v_lshlrev_b32_e32 v20, 2, v20
	s_clause 0x2
	global_load_b96 v[17:19], v18, s[4:5]
	global_load_b96 v[27:29], v24, s[4:5]
	;; [unrolled: 1-line block ×3, first 2 shown]
	v_lshrrev_b16 v20, 12, v15
	v_and_b32_e32 v33, 0xffff, v35
	v_lshrrev_b32_e32 v41, 20, v16
	v_mul_lo_u16 v36, v36, 24
	v_mul_lo_u16 v37, v37, 24
	;; [unrolled: 1-line block ×3, first 2 shown]
	v_mul_u32_u24_e32 v33, 24, v33
	v_mul_lo_u16 v40, v41, 24
	v_mad_i32_i24 v26, 0xffffffec, v4, v23
	v_lshl_add_u32 v25, v12, 2, 0
	v_sub_nc_u16 v35, v0, v35
	v_lshl_add_u32 v24, v10, 2, 0
	v_sub_nc_u16 v45, v4, v40
	v_or_b32_e32 v40, v33, v38
	v_or_b32_e32 v46, v36, v34
	v_and_b32_e32 v44, 0xff, v35
	v_or_b32_e32 v47, v37, v39
	ds_load_2addr_stride64_b32 v[33:34], v22 offset0:20 offset1:24
	ds_load_2addr_stride64_b32 v[35:36], v22 offset0:36 offset1:40
	;; [unrolled: 1-line block ×3, first 2 shown]
	ds_load_b32 v49, v26
	ds_load_b32 v50, v25
	;; [unrolled: 1-line block ×3, first 2 shown]
	ds_load_b32 v52, v22 offset:11264
	v_lshl_add_u32 v55, v40, 2, 0
	ds_load_2addr_stride64_b32 v[39:40], v22 offset1:16
	v_lshrrev_b32_e32 v42, 20, v14
	v_mul_lo_u16 v53, v45, 3
	v_mul_u32_u24_e32 v48, 3, v44
	v_and_b32_e32 v46, 0xffff, v46
	v_and_b32_e32 v47, 0xffff, v47
	v_mul_lo_u16 v43, v42, 24
	v_and_b32_e32 v53, 0xffff, v53
	v_lshlrev_b32_e32 v48, 2, v48
	v_lshl_add_u32 v46, v46, 2, 0
	v_lshl_add_u32 v47, v47, 2, 0
	v_sub_nc_u16 v43, v12, v43
	s_wait_dscnt 0x7
	v_lshrrev_b32_e32 v61, 16, v34
	s_wait_dscnt 0x6
	v_lshrrev_b32_e32 v62, 16, v35
	v_lshrrev_b32_e32 v56, 16, v36
	s_wait_dscnt 0x5
	v_lshrrev_b32_e32 v64, 16, v37
	;; [unrolled: 3-line block ×4, first 2 shown]
	s_wait_dscnt 0x0
	v_lshrrev_b32_e32 v63, 16, v40
	v_lshrrev_b32_e32 v65, 16, v39
	;; [unrolled: 1-line block ×4, first 2 shown]
	v_mul_lo_u16 v54, v43, 3
	v_lshlrev_b32_e32 v53, 2, v53
	global_wb scope:SCOPE_SE
	s_wait_loadcnt 0x0
	s_barrier_signal -1
	s_barrier_wait -1
	v_and_b32_e32 v54, 0xffff, v54
	global_inv scope:SCOPE_SE
	v_lshlrev_b64_e32 v[10:11], 2, v[10:11]
	v_lshrrev_b32_e32 v68, 16, v17
	v_lshrrev_b32_e32 v69, 16, v18
	;; [unrolled: 1-line block ×9, first 2 shown]
	v_mul_f16_e32 v77, v68, v60
	v_mul_f16_e32 v68, v68, v51
	;; [unrolled: 1-line block ×18, first 2 shown]
	v_fmac_f16_e32 v77, v17, v51
	v_fma_f16 v17, v17, v60, -v68
	v_fmac_f16_e32 v78, v18, v34
	v_fma_f16 v18, v18, v61, -v69
	v_fmac_f16_e32 v79, v19, v35
	v_fma_f16 v19, v19, v62, -v70
	v_fmac_f16_e32 v80, v27, v40
	v_fma_f16 v27, v27, v63, -v71
	v_fmac_f16_e32 v81, v28, v37
	v_fma_f16 v28, v28, v64, -v72
	v_fmac_f16_e32 v82, v36, v29
	v_fma_f16 v29, v56, v29, -v73
	v_fmac_f16_e32 v83, v33, v30
	v_fma_f16 v30, v57, v30, -v74
	v_fmac_f16_e32 v84, v38, v31
	v_fma_f16 v31, v58, v31, -v75
	v_fmac_f16_e32 v85, v52, v32
	v_fma_f16 v32, v59, v32, -v76
	v_sub_f16_e32 v33, v39, v78
	v_sub_f16_e32 v18, v65, v18
	;; [unrolled: 1-line block ×12, first 2 shown]
	v_fma_f16 v39, v39, 2.0, -v33
	v_fma_f16 v40, v65, 2.0, -v18
	v_fma_f16 v51, v77, 2.0, -v34
	v_fma_f16 v17, v17, 2.0, -v19
	v_fma_f16 v49, v49, 2.0, -v35
	v_fma_f16 v52, v66, 2.0, -v28
	v_fma_f16 v56, v80, 2.0, -v36
	v_fma_f16 v27, v27, 2.0, -v29
	v_fma_f16 v50, v50, 2.0, -v37
	v_fma_f16 v57, v67, 2.0, -v31
	v_fma_f16 v58, v83, 2.0, -v38
	v_fma_f16 v30, v30, 2.0, -v32
	v_add_f16_e32 v19, v33, v19
	v_sub_f16_e32 v34, v18, v34
	v_add_f16_e32 v29, v35, v29
	v_sub_f16_e32 v36, v28, v36
	v_sub_f16_e32 v51, v39, v51
	;; [unrolled: 1-line block ×3, first 2 shown]
	v_add_f16_e32 v32, v37, v32
	v_sub_f16_e32 v38, v31, v38
	v_sub_f16_e32 v56, v49, v56
	;; [unrolled: 1-line block ×5, first 2 shown]
	v_fma_f16 v33, v33, 2.0, -v19
	v_fma_f16 v18, v18, 2.0, -v34
	;; [unrolled: 1-line block ×4, first 2 shown]
	v_pack_b32_f16 v19, v19, v34
	v_pack_b32_f16 v29, v29, v36
	v_fma_f16 v34, v39, 2.0, -v51
	v_fma_f16 v36, v40, 2.0, -v17
	;; [unrolled: 1-line block ×4, first 2 shown]
	v_pack_b32_f16 v32, v32, v38
	v_fma_f16 v38, v49, 2.0, -v56
	v_fma_f16 v39, v52, 2.0, -v27
	;; [unrolled: 1-line block ×4, first 2 shown]
	v_pack_b32_f16 v17, v51, v17
	v_pack_b32_f16 v18, v33, v18
	;; [unrolled: 1-line block ×9, first 2 shown]
	ds_store_2addr_b32 v55, v17, v19 offset0:12 offset1:18
	ds_store_2addr_b32 v55, v33, v18 offset1:6
	ds_store_2addr_b32 v46, v34, v28 offset1:6
	ds_store_2addr_b32 v46, v27, v29 offset0:12 offset1:18
	ds_store_2addr_b32 v47, v35, v31 offset1:6
	ds_store_2addr_b32 v47, v30, v32 offset0:12 offset1:18
	v_lshlrev_b32_e32 v30, 2, v54
	global_wb scope:SCOPE_SE
	s_wait_dscnt 0x0
	s_barrier_signal -1
	s_barrier_wait -1
	global_inv scope:SCOPE_SE
	s_clause 0x2
	global_load_b96 v[17:19], v48, s[4:5] offset:72
	global_load_b96 v[27:29], v53, s[4:5] offset:72
	;; [unrolled: 1-line block ×3, first 2 shown]
	v_lshrrev_b16 v39, 14, v15
	v_and_b32_e32 v15, 0xffff, v20
	v_lshrrev_b32_e32 v40, 22, v16
	v_lshrrev_b32_e32 v46, 22, v14
	v_mul_lo_u16 v33, 0x60, v41
	v_mul_lo_u16 v20, 0x60, v39
	v_mul_u32_u24_e32 v14, 0x60, v15
	v_mul_lo_u16 v16, 0x60, v40
	v_mul_lo_u16 v34, 0x60, v42
	s_delay_alu instid0(VALU_DEP_4) | instskip(SKIP_1) | instid1(VALU_DEP_4)
	v_sub_nc_u16 v15, v0, v20
	v_mul_lo_u16 v20, 0x60, v46
	v_sub_nc_u16 v42, v4, v16
	v_or_b32_e32 v16, v14, v44
	v_or_b32_e32 v44, v33, v45
	v_and_b32_e32 v41, 0xff, v15
	v_or_b32_e32 v43, v34, v43
	ds_load_2addr_stride64_b32 v[14:15], v22 offset0:20 offset1:24
	ds_load_2addr_stride64_b32 v[33:34], v22 offset0:36 offset1:40
	;; [unrolled: 1-line block ×3, first 2 shown]
	ds_load_b32 v47, v26
	ds_load_b32 v48, v25
	;; [unrolled: 1-line block ×3, first 2 shown]
	ds_load_b32 v50, v22 offset:11264
	ds_load_2addr_stride64_b32 v[37:38], v22 offset1:16
	v_sub_nc_u16 v20, v12, v20
	v_mul_lo_u16 v51, v42, 3
	v_mul_u32_u24_e32 v45, 3, v41
	v_and_b32_e32 v44, 0xffff, v44
	v_and_b32_e32 v43, 0xffff, v43
	v_mul_lo_u16 v52, v20, 3
	v_and_b32_e32 v51, 0xffff, v51
	v_lshl_add_u32 v16, v16, 2, 0
	v_lshlrev_b32_e32 v45, 2, v45
	v_lshl_add_u32 v44, v44, 2, 0
	v_and_b32_e32 v52, 0xffff, v52
	v_lshl_add_u32 v43, v43, 2, 0
	s_wait_dscnt 0x7
	v_lshrrev_b32_e32 v58, 16, v15
	s_wait_dscnt 0x6
	v_lshrrev_b32_e32 v59, 16, v33
	v_lshrrev_b32_e32 v53, 16, v34
	s_wait_dscnt 0x5
	v_lshrrev_b32_e32 v61, 16, v35
	;; [unrolled: 3-line block ×4, first 2 shown]
	v_lshrrev_b32_e32 v56, 16, v50
	v_lshrrev_b32_e32 v62, 16, v37
	;; [unrolled: 1-line block ×4, first 2 shown]
	v_lshlrev_b32_e32 v51, 2, v51
	global_wb scope:SCOPE_SE
	s_wait_loadcnt 0x0
	s_barrier_signal -1
	s_barrier_wait -1
	global_inv scope:SCOPE_SE
	v_lshlrev_b64_e32 v[12:13], 2, v[12:13]
	v_lshrrev_b32_e32 v65, 16, v17
	v_lshrrev_b32_e32 v66, 16, v18
	;; [unrolled: 1-line block ×9, first 2 shown]
	v_mul_f16_e32 v74, v65, v57
	v_mul_f16_e32 v65, v65, v49
	;; [unrolled: 1-line block ×18, first 2 shown]
	v_fmac_f16_e32 v74, v17, v49
	v_fma_f16 v17, v17, v57, -v65
	v_fmac_f16_e32 v75, v18, v15
	v_fma_f16 v15, v18, v58, -v66
	v_fmac_f16_e32 v76, v19, v33
	v_fma_f16 v18, v19, v59, -v67
	v_fmac_f16_e32 v77, v27, v38
	v_fma_f16 v19, v27, v60, -v68
	v_fmac_f16_e32 v78, v28, v35
	v_fma_f16 v27, v28, v61, -v69
	v_fmac_f16_e32 v79, v34, v29
	v_fma_f16 v28, v53, v29, -v70
	v_fmac_f16_e32 v80, v14, v30
	v_fma_f16 v14, v54, v30, -v71
	v_fmac_f16_e32 v81, v36, v31
	v_fma_f16 v29, v55, v31, -v72
	v_fmac_f16_e32 v82, v50, v32
	v_fma_f16 v30, v56, v32, -v73
	v_sub_f16_e32 v31, v37, v75
	v_sub_f16_e32 v15, v62, v15
	;; [unrolled: 1-line block ×12, first 2 shown]
	v_fma_f16 v37, v37, 2.0, -v31
	v_fma_f16 v38, v62, 2.0, -v15
	;; [unrolled: 1-line block ×12, first 2 shown]
	v_add_f16_e32 v18, v31, v18
	v_sub_f16_e32 v32, v15, v32
	v_add_f16_e32 v28, v33, v28
	v_sub_f16_e32 v34, v27, v34
	v_sub_f16_e32 v49, v37, v49
	;; [unrolled: 1-line block ×3, first 2 shown]
	v_add_f16_e32 v30, v35, v30
	v_sub_f16_e32 v36, v29, v36
	v_sub_f16_e32 v53, v47, v53
	;; [unrolled: 1-line block ×5, first 2 shown]
	v_fma_f16 v31, v31, 2.0, -v18
	v_fma_f16 v15, v15, 2.0, -v32
	;; [unrolled: 1-line block ×4, first 2 shown]
	v_pack_b32_f16 v18, v18, v32
	v_pack_b32_f16 v28, v28, v34
	v_fma_f16 v32, v37, 2.0, -v49
	v_fma_f16 v34, v38, 2.0, -v17
	;; [unrolled: 1-line block ×4, first 2 shown]
	v_pack_b32_f16 v30, v30, v36
	v_fma_f16 v36, v47, 2.0, -v53
	v_fma_f16 v37, v50, 2.0, -v19
	v_fma_f16 v38, v48, 2.0, -v55
	v_fma_f16 v47, v54, 2.0, -v14
	v_pack_b32_f16 v17, v49, v17
	v_pack_b32_f16 v15, v31, v15
	;; [unrolled: 1-line block ×9, first 2 shown]
	ds_store_2addr_b32 v16, v17, v18 offset0:48 offset1:72
	ds_store_2addr_b32 v16, v31, v15 offset1:24
	ds_store_2addr_b32 v44, v32, v27 offset1:24
	ds_store_2addr_b32 v44, v19, v28 offset0:48 offset1:72
	ds_store_2addr_b32 v43, v33, v29 offset1:24
	ds_store_2addr_b32 v43, v14, v30 offset0:48 offset1:72
	v_mov_b32_e32 v31, 0
	v_lshlrev_b32_e32 v27, 2, v52
	global_wb scope:SCOPE_SE
	s_wait_dscnt 0x0
	s_barrier_signal -1
	s_barrier_wait -1
	global_inv scope:SCOPE_SE
	s_clause 0x2
	global_load_b96 v[14:16], v45, s[4:5] offset:360
	global_load_b96 v[17:19], v51, s[4:5] offset:360
	;; [unrolled: 1-line block ×3, first 2 shown]
	v_add_nc_u32_e32 v32, 0xffffff80, v0
	v_and_b32_e32 v33, 0xffff, v39
	v_mul_lo_u16 v34, 0x180, v40
	v_mul_lo_u16 v35, 0x180, v46
	v_mul_u32_u24_e32 v30, 3, v0
	s_wait_alu 0xf1ff
	v_cndmask_b32_e64 v48, v32, v4, s0
	v_mul_u32_u24_e32 v32, 0x180, v33
	v_or_b32_e32 v33, v34, v42
	v_or_b32_e32 v20, v35, v20
	v_lshlrev_b32_e32 v40, 2, v30
	v_mul_i32_i24_e32 v30, 3, v48
	v_or_b32_e32 v38, v32, v41
	v_and_b32_e32 v39, 0xffff, v33
	ds_load_2addr_stride64_b32 v[32:33], v22 offset0:20 offset1:24
	ds_load_2addr_stride64_b32 v[34:35], v22 offset0:36 offset1:40
	;; [unrolled: 1-line block ×3, first 2 shown]
	ds_load_b32 v41, v26
	ds_load_b32 v42, v25
	;; [unrolled: 1-line block ×3, first 2 shown]
	ds_load_b32 v44, v22 offset:11264
	v_and_b32_e32 v20, 0xffff, v20
	v_lshlrev_b64_e32 v[30:31], 2, v[30:31]
	v_lshl_add_u32 v45, v38, 2, 0
	v_lshl_add_u32 v46, v39, 2, 0
	ds_load_2addr_stride64_b32 v[38:39], v22 offset1:16
	v_lshl_add_u32 v20, v20, 2, 0
	global_wb scope:SCOPE_SE
	s_wait_loadcnt_dscnt 0x0
	v_add_co_u32 v30, s0, s4, v30
	v_add_nc_u32_e32 v47, 0x200, v45
	s_wait_alu 0xf1ff
	v_add_co_ci_u32_e64 v31, s0, s5, v31, s0
	v_add_nc_u32_e32 v49, 0x200, v46
	v_lshrrev_b32_e32 v56, 16, v33
	v_lshrrev_b32_e32 v57, 16, v34
	;; [unrolled: 1-line block ×10, first 2 shown]
	v_add_nc_u32_e32 v50, 0x200, v20
	v_lshrrev_b32_e32 v58, 16, v39
	v_lshrrev_b32_e32 v60, 16, v38
	s_barrier_signal -1
	s_barrier_wait -1
	global_inv scope:SCOPE_SE
	v_cmp_lt_u32_e64 s0, 0x17f, v4
	v_lshrrev_b32_e32 v63, 16, v14
	v_lshrrev_b32_e32 v64, 16, v15
	;; [unrolled: 1-line block ×9, first 2 shown]
	v_mul_f16_e32 v72, v63, v55
	v_mul_f16_e32 v63, v63, v43
	;; [unrolled: 1-line block ×18, first 2 shown]
	v_fmac_f16_e32 v72, v14, v43
	v_fma_f16 v14, v14, v55, -v63
	v_fmac_f16_e32 v73, v15, v33
	v_fma_f16 v15, v15, v56, -v64
	;; [unrolled: 2-line block ×9, first 2 shown]
	v_sub_f16_e32 v32, v38, v73
	v_sub_f16_e32 v15, v60, v15
	;; [unrolled: 1-line block ×12, first 2 shown]
	v_fma_f16 v38, v38, 2.0, -v32
	v_fma_f16 v39, v60, 2.0, -v15
	;; [unrolled: 1-line block ×12, first 2 shown]
	v_add_f16_e32 v16, v32, v16
	v_sub_f16_e32 v33, v15, v33
	v_add_f16_e32 v19, v34, v19
	v_sub_f16_e32 v35, v18, v35
	v_sub_f16_e32 v43, v38, v43
	;; [unrolled: 1-line block ×3, first 2 shown]
	v_add_f16_e32 v29, v36, v29
	v_sub_f16_e32 v37, v28, v37
	v_sub_f16_e32 v51, v41, v51
	;; [unrolled: 1-line block ×5, first 2 shown]
	v_fma_f16 v32, v32, 2.0, -v16
	v_fma_f16 v15, v15, 2.0, -v33
	v_fma_f16 v34, v34, 2.0, -v19
	v_fma_f16 v18, v18, 2.0, -v35
	v_pack_b32_f16 v16, v16, v33
	v_pack_b32_f16 v19, v19, v35
	v_fma_f16 v33, v38, 2.0, -v43
	v_fma_f16 v35, v39, 2.0, -v14
	;; [unrolled: 1-line block ×4, first 2 shown]
	v_pack_b32_f16 v29, v29, v37
	v_fma_f16 v37, v41, 2.0, -v51
	v_fma_f16 v38, v44, 2.0, -v17
	;; [unrolled: 1-line block ×4, first 2 shown]
	v_pack_b32_f16 v14, v43, v14
	v_pack_b32_f16 v15, v32, v15
	;; [unrolled: 1-line block ×9, first 2 shown]
	ds_store_2addr_b32 v47, v14, v16 offset0:64 offset1:160
	ds_store_2addr_b32 v45, v32, v15 offset1:96
	ds_store_2addr_b32 v46, v33, v18 offset1:96
	ds_store_2addr_b32 v49, v17, v19 offset0:64 offset1:160
	ds_store_2addr_b32 v20, v34, v28 offset1:96
	ds_store_2addr_b32 v50, v27, v29 offset0:64 offset1:160
	global_wb scope:SCOPE_SE
	s_wait_dscnt 0x0
	s_barrier_signal -1
	s_barrier_wait -1
	global_inv scope:SCOPE_SE
	s_clause 0x2
	global_load_b96 v[27:29], v40, s[4:5] offset:1512
	global_load_b96 v[30:32], v[30:31], off offset:1512
	global_load_b96 v[33:35], v40, s[4:5] offset:3048
	v_lshlrev_b64_e32 v[14:15], 2, v[0:1]
	v_lshlrev_b64_e32 v[17:18], 2, v[4:5]
	v_lshlrev_b64_e32 v[36:37], 2, v[6:7]
	ds_load_2addr_stride64_b32 v[40:41], v22 offset0:20 offset1:24
	ds_load_2addr_stride64_b32 v[42:43], v22 offset0:36 offset1:40
	ds_load_2addr_stride64_b32 v[44:45], v22 offset0:28 offset1:32
	ds_load_b32 v1, v26
	ds_load_b32 v5, v25
	;; [unrolled: 1-line block ×3, first 2 shown]
	ds_load_b32 v50, v22 offset:11264
	ds_load_2addr_stride64_b32 v[46:47], v22 offset1:16
	s_wait_alu 0xf1ff
	v_cndmask_b32_e64 v49, 0, 0x600, s0
	v_add_co_u32 v19, s0, s4, v14
	s_wait_alu 0xf1ff
	v_add_co_ci_u32_e64 v20, s0, s5, v15, s0
	v_add_co_u32 v17, s0, s4, v17
	s_wait_alu 0xf1ff
	v_add_co_ci_u32_e64 v18, s0, s5, v18, s0
	;; [unrolled: 3-line block ×3, first 2 shown]
	v_lshlrev_b64_e32 v[38:39], 2, v[8:9]
	v_add_co_u32 v13, s0, s4, v10
	s_wait_alu 0xf1ff
	v_add_co_ci_u32_e64 v14, s0, s5, v11, s0
	v_add_co_u32 v11, s0, s4, v36
	s_wait_alu 0xf1ff
	v_add_co_ci_u32_e64 v12, s0, s5, v37, s0
	v_or_b32_e32 v36, v49, v48
	s_wait_dscnt 0x2
	v_lshrrev_b32_e32 v49, 16, v7
	v_lshrrev_b32_e32 v51, 16, v41
	;; [unrolled: 1-line block ×3, first 2 shown]
	v_add_co_u32 v9, s0, s4, v38
	v_lshrrev_b32_e32 v37, 16, v43
	s_wait_dscnt 0x0
	v_lshrrev_b32_e32 v53, 16, v47
	v_lshrrev_b32_e32 v54, 16, v44
	s_wait_alu 0xf1ff
	v_add_co_ci_u32_e64 v10, s0, s5, v39, s0
	v_lshrrev_b32_e32 v38, 16, v40
	v_lshrrev_b32_e32 v39, 16, v45
	;; [unrolled: 1-line block ×6, first 2 shown]
	v_lshl_add_u32 v36, v36, 2, 0
	global_wb scope:SCOPE_SE
	s_wait_loadcnt 0x0
	s_barrier_signal -1
	s_barrier_wait -1
	global_inv scope:SCOPE_SE
	v_cmp_ne_u32_e64 s0, 0, v0
	v_lshrrev_b32_e32 v58, 16, v27
	v_lshrrev_b32_e32 v59, 16, v28
	;; [unrolled: 1-line block ×9, first 2 shown]
	v_mul_f16_e32 v67, v58, v49
	v_mul_f16_e32 v58, v58, v7
	;; [unrolled: 1-line block ×18, first 2 shown]
	v_fmac_f16_e32 v67, v27, v7
	v_fma_f16 v7, v27, v49, -v58
	v_fmac_f16_e32 v68, v28, v41
	v_fma_f16 v27, v28, v51, -v59
	v_fmac_f16_e32 v69, v29, v42
	v_fma_f16 v28, v29, v52, -v60
	v_fmac_f16_e32 v70, v30, v47
	v_fma_f16 v29, v30, v53, -v61
	v_fmac_f16_e32 v71, v31, v44
	v_fma_f16 v30, v31, v54, -v62
	v_fmac_f16_e32 v72, v43, v32
	v_fma_f16 v31, v37, v32, -v63
	v_fmac_f16_e32 v73, v40, v33
	v_fma_f16 v32, v38, v33, -v64
	v_fmac_f16_e32 v74, v45, v34
	v_fma_f16 v33, v39, v34, -v65
	v_fmac_f16_e32 v75, v50, v35
	v_fma_f16 v34, v48, v35, -v66
	v_sub_f16_e32 v35, v46, v68
	v_sub_f16_e32 v27, v55, v27
	;; [unrolled: 1-line block ×12, first 2 shown]
	v_fma_f16 v42, v46, 2.0, -v35
	v_fma_f16 v43, v55, 2.0, -v27
	;; [unrolled: 1-line block ×12, first 2 shown]
	v_add_f16_e32 v28, v35, v28
	v_sub_f16_e32 v37, v27, v37
	v_add_f16_e32 v31, v38, v31
	v_sub_f16_e32 v39, v30, v39
	v_sub_f16_e32 v44, v42, v44
	;; [unrolled: 1-line block ×3, first 2 shown]
	v_add_f16_e32 v34, v40, v34
	v_sub_f16_e32 v41, v33, v41
	v_sub_f16_e32 v46, v1, v46
	;; [unrolled: 1-line block ×5, first 2 shown]
	v_fma_f16 v35, v35, 2.0, -v28
	v_fma_f16 v27, v27, 2.0, -v37
	;; [unrolled: 1-line block ×4, first 2 shown]
	v_pack_b32_f16 v28, v28, v37
	v_pack_b32_f16 v31, v31, v39
	v_fma_f16 v37, v42, 2.0, -v44
	v_fma_f16 v39, v43, 2.0, -v7
	;; [unrolled: 1-line block ×4, first 2 shown]
	v_pack_b32_f16 v34, v34, v41
	v_fma_f16 v1, v1, 2.0, -v46
	v_fma_f16 v41, v45, 2.0, -v29
	;; [unrolled: 1-line block ×4, first 2 shown]
	v_pack_b32_f16 v7, v44, v7
	v_pack_b32_f16 v27, v35, v27
	;; [unrolled: 1-line block ×9, first 2 shown]
	ds_store_2addr_stride64_b32 v22, v7, v28 offset0:12 offset1:18
	ds_store_2addr_stride64_b32 v22, v35, v27 offset1:6
	ds_store_2addr_stride64_b32 v36, v1, v30 offset1:6
	ds_store_2addr_stride64_b32 v36, v29, v31 offset0:12 offset1:18
	ds_store_2addr_stride64_b32 v22, v5, v33 offset0:26 offset1:32
	;; [unrolled: 1-line block ×3, first 2 shown]
	global_wb scope:SCOPE_SE
	s_wait_dscnt 0x0
	s_barrier_signal -1
	s_barrier_wait -1
	global_inv scope:SCOPE_SE
	s_clause 0x5
	global_load_b32 v7, v[19:20], off offset:6120
	global_load_b32 v33, v[9:10], off offset:6120
	;; [unrolled: 1-line block ×6, first 2 shown]
	ds_load_2addr_stride64_b32 v[27:28], v22 offset1:24
	ds_load_b32 v38, v22 offset:11264
	ds_load_2addr_stride64_b32 v[29:30], v22 offset0:36 offset1:40
	ds_load_2addr_stride64_b32 v[31:32], v22 offset0:28 offset1:32
	v_lshl_add_u32 v5, v6, 2, 0
	v_lshl_add_u32 v1, v8, 2, 0
	ds_load_b32 v6, v5
	ds_load_b32 v8, v1
	;; [unrolled: 1-line block ×5, first 2 shown]
	global_wb scope:SCOPE_SE
	s_wait_loadcnt_dscnt 0x0
	s_barrier_signal -1
	s_barrier_wait -1
	global_inv scope:SCOPE_SE
	v_pk_mul_f16 v42, v7, v28 op_sel:[0,1]
	v_pk_mul_f16 v43, v38, v33 op_sel:[0,1]
	;; [unrolled: 1-line block ×6, first 2 shown]
	v_pk_fma_f16 v48, v7, v28, v42 op_sel:[0,0,1] op_sel_hi:[1,1,0]
	v_pk_fma_f16 v7, v7, v28, v42 op_sel:[0,0,1] op_sel_hi:[1,0,0] neg_lo:[1,0,0] neg_hi:[1,0,0]
	v_pk_fma_f16 v28, v38, v33, v43 op_sel:[0,0,1] op_sel_hi:[1,1,0]
	v_pk_fma_f16 v33, v38, v33, v43 op_sel:[0,0,1] op_sel_hi:[1,0,0] neg_lo:[0,0,1] neg_hi:[0,0,1]
	v_pk_fma_f16 v38, v34, v30, v44 op_sel:[0,0,1] op_sel_hi:[1,1,0]
	v_pk_fma_f16 v30, v34, v30, v44 op_sel:[0,0,1] op_sel_hi:[1,0,0] neg_lo:[1,0,0] neg_hi:[1,0,0]
	v_pk_fma_f16 v34, v35, v29, v45 op_sel:[0,0,1] op_sel_hi:[1,1,0]
	v_pk_fma_f16 v29, v35, v29, v45 op_sel:[0,0,1] op_sel_hi:[1,0,0] neg_lo:[1,0,0] neg_hi:[1,0,0]
	v_pk_fma_f16 v35, v36, v32, v46 op_sel:[0,0,1] op_sel_hi:[1,1,0]
	v_pk_fma_f16 v32, v36, v32, v46 op_sel:[0,0,1] op_sel_hi:[1,0,0] neg_lo:[1,0,0] neg_hi:[1,0,0]
	v_pk_fma_f16 v36, v37, v31, v47 op_sel:[0,0,1] op_sel_hi:[1,1,0]
	v_pk_fma_f16 v31, v37, v31, v47 op_sel:[0,0,1] op_sel_hi:[1,0,0] neg_lo:[1,0,0] neg_hi:[1,0,0]
	v_bfi_b32 v7, 0xffff, v48, v7
	v_bfi_b32 v29, 0xffff, v34, v29
	;; [unrolled: 1-line block ×6, first 2 shown]
	v_pk_add_f16 v7, v27, v7 neg_lo:[0,1] neg_hi:[0,1]
	v_pk_add_f16 v32, v39, v32 neg_lo:[0,1] neg_hi:[0,1]
	;; [unrolled: 1-line block ×6, first 2 shown]
	v_pk_fma_f16 v27, v27, 2.0, v7 op_sel_hi:[1,0,1] neg_lo:[0,0,1] neg_hi:[0,0,1]
	v_pk_fma_f16 v34, v39, 2.0, v32 op_sel_hi:[1,0,1] neg_lo:[0,0,1] neg_hi:[0,0,1]
	;; [unrolled: 1-line block ×6, first 2 shown]
	ds_store_2addr_stride64_b32 v22, v27, v7 offset1:24
	ds_store_2addr_stride64_b32 v26, v33, v31 offset1:24
	;; [unrolled: 1-line block ×6, first 2 shown]
	global_wb scope:SCOPE_SE
	s_wait_dscnt 0x0
	s_barrier_signal -1
	s_barrier_wait -1
	global_inv scope:SCOPE_SE
	ds_load_b32 v27, v22
	v_sub_nc_u32_e32 v6, 0, v21
                                        ; implicit-def: $vgpr26
                                        ; implicit-def: $vgpr8
                                        ; implicit-def: $vgpr7
	s_and_saveexec_b32 s1, s0
	s_wait_alu 0xfffe
	s_xor_b32 s0, exec_lo, s1
	s_cbranch_execz .LBB0_15
; %bb.14:
	global_load_b32 v7, v[19:20], off offset:12264
	ds_load_b32 v8, v6 offset:12288
	s_wait_dscnt 0x0
	v_pk_add_f16 v19, v27, v8 neg_lo:[0,1] neg_hi:[0,1]
	v_pk_add_f16 v8, v8, v27
	s_delay_alu instid0(VALU_DEP_1) | instskip(SKIP_1) | instid1(VALU_DEP_2)
	v_bfi_b32 v20, 0xffff, v19, v8
	v_bfi_b32 v8, 0xffff, v8, v19
	v_pk_mul_f16 v20, v20, 0.5 op_sel_hi:[1,0]
	s_delay_alu instid0(VALU_DEP_2) | instskip(SKIP_1) | instid1(VALU_DEP_2)
	v_pk_mul_f16 v26, v8, 0.5 op_sel_hi:[1,0]
	s_wait_loadcnt 0x0
	v_pk_mul_f16 v19, v7, v20 op_sel:[1,0]
	v_pk_mul_f16 v7, v7, v20 op_sel_hi:[0,1]
	s_delay_alu instid0(VALU_DEP_3) | instskip(NEXT) | instid1(VALU_DEP_3)
	v_lshrrev_b32_e32 v20, 16, v26
	v_pk_fma_f16 v8, v8, 0.5, v19 op_sel_hi:[1,0,1]
	v_lshrrev_b32_e32 v27, 16, v19
	v_sub_f16_e32 v19, v26, v19
	v_lshrrev_b32_e32 v26, 16, v7
	s_delay_alu instid0(VALU_DEP_4) | instskip(SKIP_2) | instid1(VALU_DEP_4)
	v_pk_add_f16 v28, v8, v7 op_sel:[0,1] op_sel_hi:[1,0]
	v_pk_add_f16 v29, v8, v7 op_sel:[0,1] op_sel_hi:[1,0] neg_lo:[0,1] neg_hi:[0,1]
	v_sub_f16_e32 v20, v27, v20
	v_sub_f16_e32 v8, v19, v26
                                        ; implicit-def: $vgpr27
	s_delay_alu instid0(VALU_DEP_3) | instskip(NEXT) | instid1(VALU_DEP_3)
	v_bfi_b32 v26, 0xffff, v28, v29
	v_sub_f16_e32 v7, v20, v7
.LBB0_15:
	s_wait_alu 0xfffe
	s_or_saveexec_b32 s0, s0
	v_mul_i32_i24_e32 v4, 0xffffffec, v4
	s_wait_alu 0xfffe
	s_xor_b32 exec_lo, exec_lo, s0
	s_cbranch_execz .LBB0_17
; %bb.16:
	v_mov_b32_e32 v7, 0
	s_wait_dscnt 0x0
	v_alignbit_b32 v8, s0, v27, 16
	v_lshrrev_b32_e32 v20, 16, v27
	ds_load_u16 v19, v7 offset:6146
	v_pk_add_f16 v26, v8, v27
	v_sub_f16_e32 v8, v27, v20
	s_delay_alu instid0(VALU_DEP_2)
	v_pack_b32_f16 v26, v26, 0
	s_wait_dscnt 0x0
	v_xor_b32_e32 v19, 0x8000, v19
	ds_store_b16 v7, v19 offset:6146
.LBB0_17:
	s_or_b32 exec_lo, exec_lo, s0
	s_clause 0x4
	global_load_b32 v17, v[17:18], off offset:12264
	global_load_b32 v15, v[15:16], off offset:12264
	;; [unrolled: 1-line block ×5, first 2 shown]
	v_add_nc_u32_e32 v4, v23, v4
	ds_store_b16 v6, v7 offset:12290
	ds_store_b32 v22, v26
	ds_store_b16 v6, v8 offset:12288
	ds_load_b32 v7, v4
	ds_load_b32 v8, v6 offset:11264
	s_wait_dscnt 0x0
	v_pk_add_f16 v10, v7, v8 neg_lo:[0,1] neg_hi:[0,1]
	v_pk_add_f16 v7, v7, v8
	s_delay_alu instid0(VALU_DEP_1) | instskip(SKIP_1) | instid1(VALU_DEP_2)
	v_bfi_b32 v8, 0xffff, v10, v7
	v_bfi_b32 v7, 0xffff, v7, v10
	v_pk_mul_f16 v8, v8, 0.5 op_sel_hi:[1,0]
	s_delay_alu instid0(VALU_DEP_2) | instskip(SKIP_1) | instid1(VALU_DEP_1)
	v_pk_mul_f16 v7, v7, 0.5 op_sel_hi:[1,0]
	s_wait_loadcnt 0x4
	v_pk_fma_f16 v10, v17, v8, v7 op_sel:[1,0,0]
	v_pk_mul_f16 v12, v17, v8 op_sel_hi:[0,1]
	v_pk_fma_f16 v14, v17, v8, v7 op_sel:[1,0,0] neg_lo:[1,0,0] neg_hi:[1,0,0]
	v_pk_fma_f16 v7, v17, v8, v7 op_sel:[1,0,0] neg_lo:[0,0,1] neg_hi:[0,0,1]
	s_delay_alu instid0(VALU_DEP_3) | instskip(SKIP_1) | instid1(VALU_DEP_4)
	v_pk_add_f16 v8, v10, v12 op_sel:[0,1] op_sel_hi:[1,0]
	v_pk_add_f16 v10, v10, v12 op_sel:[0,1] op_sel_hi:[1,0] neg_lo:[0,1] neg_hi:[0,1]
	v_pk_add_f16 v14, v14, v12 op_sel:[0,1] op_sel_hi:[1,0] neg_lo:[0,1] neg_hi:[0,1]
	s_delay_alu instid0(VALU_DEP_4) | instskip(NEXT) | instid1(VALU_DEP_3)
	v_pk_add_f16 v7, v7, v12 op_sel:[0,1] op_sel_hi:[1,0] neg_lo:[0,1] neg_hi:[0,1]
	v_bfi_b32 v8, 0xffff, v8, v10
	s_delay_alu instid0(VALU_DEP_2)
	v_bfi_b32 v7, 0xffff, v14, v7
	ds_store_b32 v4, v8
	ds_store_b32 v6, v7 offset:11264
	ds_load_b32 v4, v25
	ds_load_b32 v7, v6 offset:10240
	s_wait_dscnt 0x0
	v_pk_add_f16 v8, v4, v7 neg_lo:[0,1] neg_hi:[0,1]
	v_pk_add_f16 v4, v4, v7
	s_delay_alu instid0(VALU_DEP_1) | instskip(SKIP_1) | instid1(VALU_DEP_2)
	v_bfi_b32 v7, 0xffff, v8, v4
	v_bfi_b32 v4, 0xffff, v4, v8
	v_pk_mul_f16 v7, v7, 0.5 op_sel_hi:[1,0]
	s_delay_alu instid0(VALU_DEP_2) | instskip(SKIP_1) | instid1(VALU_DEP_2)
	v_pk_mul_f16 v4, v4, 0.5 op_sel_hi:[1,0]
	s_wait_loadcnt 0x3
	v_pk_mul_f16 v10, v15, v7 op_sel_hi:[0,1]
	s_delay_alu instid0(VALU_DEP_2) | instskip(SKIP_2) | instid1(VALU_DEP_3)
	v_pk_fma_f16 v8, v15, v7, v4 op_sel:[1,0,0]
	v_pk_fma_f16 v12, v15, v7, v4 op_sel:[1,0,0] neg_lo:[1,0,0] neg_hi:[1,0,0]
	v_pk_fma_f16 v4, v15, v7, v4 op_sel:[1,0,0] neg_lo:[0,0,1] neg_hi:[0,0,1]
	v_pk_add_f16 v7, v8, v10 op_sel:[0,1] op_sel_hi:[1,0]
	v_pk_add_f16 v8, v8, v10 op_sel:[0,1] op_sel_hi:[1,0] neg_lo:[0,1] neg_hi:[0,1]
	s_delay_alu instid0(VALU_DEP_4) | instskip(NEXT) | instid1(VALU_DEP_4)
	v_pk_add_f16 v12, v12, v10 op_sel:[0,1] op_sel_hi:[1,0] neg_lo:[0,1] neg_hi:[0,1]
	v_pk_add_f16 v4, v4, v10 op_sel:[0,1] op_sel_hi:[1,0] neg_lo:[0,1] neg_hi:[0,1]
	s_delay_alu instid0(VALU_DEP_3) | instskip(NEXT) | instid1(VALU_DEP_2)
	v_bfi_b32 v7, 0xffff, v7, v8
	v_bfi_b32 v4, 0xffff, v12, v4
	ds_store_b32 v25, v7
	ds_store_b32 v6, v4 offset:10240
	ds_load_b32 v4, v24
	ds_load_b32 v7, v6 offset:9216
	s_wait_dscnt 0x0
	v_pk_add_f16 v8, v4, v7 neg_lo:[0,1] neg_hi:[0,1]
	v_pk_add_f16 v4, v4, v7
	s_delay_alu instid0(VALU_DEP_1) | instskip(SKIP_1) | instid1(VALU_DEP_2)
	v_bfi_b32 v7, 0xffff, v8, v4
	v_bfi_b32 v4, 0xffff, v4, v8
	v_pk_mul_f16 v7, v7, 0.5 op_sel_hi:[1,0]
	s_delay_alu instid0(VALU_DEP_2) | instskip(SKIP_1) | instid1(VALU_DEP_2)
	v_pk_mul_f16 v8, v4, 0.5 op_sel_hi:[1,0]
	s_wait_loadcnt 0x2
	v_pk_mul_f16 v10, v13, v7 op_sel:[1,0]
	v_pk_mul_f16 v7, v13, v7 op_sel_hi:[0,1]
	s_delay_alu instid0(VALU_DEP_3) | instskip(NEXT) | instid1(VALU_DEP_3)
	v_lshrrev_b32_e32 v12, 16, v8
	v_lshrrev_b32_e32 v13, 16, v10
	v_pk_fma_f16 v4, v4, 0.5, v10 op_sel_hi:[1,0,1]
	v_sub_f16_e32 v8, v8, v10
	s_delay_alu instid0(VALU_DEP_3) | instskip(NEXT) | instid1(VALU_DEP_3)
	v_sub_f16_e32 v12, v13, v12
	v_pk_add_f16 v10, v4, v7 op_sel:[0,1] op_sel_hi:[1,0]
	v_pk_add_f16 v4, v4, v7 op_sel:[0,1] op_sel_hi:[1,0] neg_lo:[0,1] neg_hi:[0,1]
	v_lshrrev_b32_e32 v13, 16, v7
	s_delay_alu instid0(VALU_DEP_4) | instskip(NEXT) | instid1(VALU_DEP_3)
	v_sub_f16_e32 v7, v12, v7
	v_bfi_b32 v4, 0xffff, v10, v4
	s_delay_alu instid0(VALU_DEP_3)
	v_sub_f16_e32 v8, v8, v13
	ds_store_b16 v6, v7 offset:9218
	ds_store_b32 v24, v4
	ds_store_b16 v6, v8 offset:9216
	ds_load_b32 v4, v5
	ds_load_b32 v7, v6 offset:8192
	s_wait_dscnt 0x0
	v_pk_add_f16 v8, v4, v7 neg_lo:[0,1] neg_hi:[0,1]
	v_pk_add_f16 v4, v4, v7
	s_delay_alu instid0(VALU_DEP_1) | instskip(SKIP_1) | instid1(VALU_DEP_2)
	v_bfi_b32 v7, 0xffff, v8, v4
	v_bfi_b32 v4, 0xffff, v4, v8
	v_pk_mul_f16 v7, v7, 0.5 op_sel_hi:[1,0]
	s_delay_alu instid0(VALU_DEP_2) | instskip(SKIP_1) | instid1(VALU_DEP_2)
	v_pk_mul_f16 v4, v4, 0.5 op_sel_hi:[1,0]
	s_wait_loadcnt 0x1
	v_pk_mul_f16 v10, v11, v7 op_sel_hi:[0,1]
	s_delay_alu instid0(VALU_DEP_2) | instskip(SKIP_2) | instid1(VALU_DEP_3)
	v_pk_fma_f16 v8, v11, v7, v4 op_sel:[1,0,0]
	v_pk_fma_f16 v12, v11, v7, v4 op_sel:[1,0,0] neg_lo:[1,0,0] neg_hi:[1,0,0]
	v_pk_fma_f16 v4, v11, v7, v4 op_sel:[1,0,0] neg_lo:[0,0,1] neg_hi:[0,0,1]
	v_pk_add_f16 v7, v8, v10 op_sel:[0,1] op_sel_hi:[1,0]
	v_pk_add_f16 v8, v8, v10 op_sel:[0,1] op_sel_hi:[1,0] neg_lo:[0,1] neg_hi:[0,1]
	s_delay_alu instid0(VALU_DEP_4) | instskip(NEXT) | instid1(VALU_DEP_4)
	v_pk_add_f16 v11, v12, v10 op_sel:[0,1] op_sel_hi:[1,0] neg_lo:[0,1] neg_hi:[0,1]
	v_pk_add_f16 v4, v4, v10 op_sel:[0,1] op_sel_hi:[1,0] neg_lo:[0,1] neg_hi:[0,1]
	s_delay_alu instid0(VALU_DEP_3) | instskip(NEXT) | instid1(VALU_DEP_2)
	v_bfi_b32 v7, 0xffff, v7, v8
	v_bfi_b32 v4, 0xffff, v11, v4
	ds_store_b32 v5, v7
	ds_store_b32 v6, v4 offset:8192
	ds_load_b32 v4, v1
	ds_load_b32 v5, v6 offset:7168
	s_wait_dscnt 0x0
	v_pk_add_f16 v7, v4, v5 neg_lo:[0,1] neg_hi:[0,1]
	v_pk_add_f16 v4, v4, v5
	s_delay_alu instid0(VALU_DEP_1) | instskip(SKIP_1) | instid1(VALU_DEP_2)
	v_bfi_b32 v5, 0xffff, v7, v4
	v_bfi_b32 v4, 0xffff, v4, v7
	v_pk_mul_f16 v5, v5, 0.5 op_sel_hi:[1,0]
	s_delay_alu instid0(VALU_DEP_2) | instskip(SKIP_1) | instid1(VALU_DEP_2)
	v_pk_mul_f16 v4, v4, 0.5 op_sel_hi:[1,0]
	s_wait_loadcnt 0x0
	v_pk_mul_f16 v8, v9, v5 op_sel_hi:[0,1]
	s_delay_alu instid0(VALU_DEP_2) | instskip(SKIP_2) | instid1(VALU_DEP_3)
	v_pk_fma_f16 v7, v9, v5, v4 op_sel:[1,0,0]
	v_pk_fma_f16 v10, v9, v5, v4 op_sel:[1,0,0] neg_lo:[1,0,0] neg_hi:[1,0,0]
	v_pk_fma_f16 v4, v9, v5, v4 op_sel:[1,0,0] neg_lo:[0,0,1] neg_hi:[0,0,1]
	v_pk_add_f16 v5, v7, v8 op_sel:[0,1] op_sel_hi:[1,0]
	v_pk_add_f16 v7, v7, v8 op_sel:[0,1] op_sel_hi:[1,0] neg_lo:[0,1] neg_hi:[0,1]
	s_delay_alu instid0(VALU_DEP_4) | instskip(NEXT) | instid1(VALU_DEP_4)
	v_pk_add_f16 v9, v10, v8 op_sel:[0,1] op_sel_hi:[1,0] neg_lo:[0,1] neg_hi:[0,1]
	v_pk_add_f16 v4, v4, v8 op_sel:[0,1] op_sel_hi:[1,0] neg_lo:[0,1] neg_hi:[0,1]
	s_delay_alu instid0(VALU_DEP_3) | instskip(NEXT) | instid1(VALU_DEP_2)
	v_bfi_b32 v5, 0xffff, v5, v7
	v_bfi_b32 v4, 0xffff, v9, v4
	ds_store_b32 v1, v5
	ds_store_b32 v6, v4 offset:7168
	global_wb scope:SCOPE_SE
	s_wait_dscnt 0x0
	s_barrier_signal -1
	s_barrier_wait -1
	global_inv scope:SCOPE_SE
	s_and_saveexec_b32 s0, vcc_lo
	s_cbranch_execz .LBB0_20
; %bb.18:
	v_add_co_u32 v1, vcc_lo, s8, v2
	s_wait_alu 0xfffd
	v_add_co_ci_u32_e32 v2, vcc_lo, s9, v3, vcc_lo
	v_or_b32_e32 v3, 0x1c00, v21
	v_or_b32_e32 v18, 0x2c00, v21
	v_or_b32_e32 v14, 0xc00, v21
	ds_load_2addr_stride64_b32 v[4:5], v22 offset1:4
	ds_load_2addr_stride64_b32 v[6:7], v22 offset0:8 offset1:16
	v_add_nc_u32_e32 v16, 0, v3
	v_add_nc_u32_e32 v17, 0, v18
	;; [unrolled: 1-line block ×3, first 2 shown]
	ds_load_2addr_stride64_b32 v[8:9], v22 offset0:20 offset1:24
	ds_load_2addr_stride64_b32 v[10:11], v22 offset0:32 offset1:36
	v_add_co_u32 v12, vcc_lo, v1, v21
	ds_load_b32 v19, v16
	ds_load_b32 v20, v17
	ds_load_b32 v21, v15
	ds_load_b32 v22, v22 offset:10240
	s_wait_alu 0xfffd
	v_add_co_ci_u32_e32 v13, vcc_lo, 0, v2, vcc_lo
	v_add_co_u32 v14, vcc_lo, v1, v14
	s_wait_alu 0xfffd
	v_add_co_ci_u32_e32 v15, vcc_lo, 0, v2, vcc_lo
	v_add_co_u32 v16, vcc_lo, v1, v3
	s_wait_alu 0xfffd
	v_add_co_ci_u32_e32 v17, vcc_lo, 0, v2, vcc_lo
	v_add_co_u32 v3, vcc_lo, v1, v18
	s_wait_dscnt 0x7
	s_clause 0x1
	global_store_b32 v[12:13], v4, off
	global_store_b32 v[12:13], v5, off offset:1024
	s_wait_dscnt 0x6
	s_clause 0x1
	global_store_b32 v[12:13], v6, off offset:2048
	global_store_b32 v[12:13], v7, off offset:4096
	s_wait_dscnt 0x5
	s_clause 0x1
	global_store_b32 v[12:13], v8, off offset:5120
	;; [unrolled: 4-line block ×3, first 2 shown]
	global_store_b32 v[12:13], v11, off offset:9216
	s_wait_alu 0xfffd
	v_add_co_ci_u32_e32 v4, vcc_lo, 0, v2, vcc_lo
	v_cmp_eq_u32_e32 vcc_lo, 0xff, v0
	s_wait_dscnt 0x0
	s_clause 0x3
	global_store_b32 v[12:13], v22, off offset:10240
	global_store_b32 v[14:15], v21, off
	global_store_b32 v[16:17], v19, off
	;; [unrolled: 1-line block ×3, first 2 shown]
	s_and_b32 exec_lo, exec_lo, vcc_lo
	s_cbranch_execz .LBB0_20
; %bb.19:
	v_mov_b32_e32 v0, 0
	ds_load_b32 v0, v0 offset:12288
	s_wait_dscnt 0x0
	global_store_b32 v[1:2], v0, off offset:12288
.LBB0_20:
	s_nop 0
	s_sendmsg sendmsg(MSG_DEALLOC_VGPRS)
	s_endpgm
	.section	.rodata,"a",@progbits
	.p2align	6, 0x0
	.amdhsa_kernel fft_rtc_back_len3072_factors_6_4_4_4_4_2_wgs_256_tpt_256_halfLds_half_ip_CI_unitstride_sbrr_R2C_dirReg
		.amdhsa_group_segment_fixed_size 0
		.amdhsa_private_segment_fixed_size 0
		.amdhsa_kernarg_size 88
		.amdhsa_user_sgpr_count 2
		.amdhsa_user_sgpr_dispatch_ptr 0
		.amdhsa_user_sgpr_queue_ptr 0
		.amdhsa_user_sgpr_kernarg_segment_ptr 1
		.amdhsa_user_sgpr_dispatch_id 0
		.amdhsa_user_sgpr_private_segment_size 0
		.amdhsa_wavefront_size32 1
		.amdhsa_uses_dynamic_stack 0
		.amdhsa_enable_private_segment 0
		.amdhsa_system_sgpr_workgroup_id_x 1
		.amdhsa_system_sgpr_workgroup_id_y 0
		.amdhsa_system_sgpr_workgroup_id_z 0
		.amdhsa_system_sgpr_workgroup_info 0
		.amdhsa_system_vgpr_workitem_id 0
		.amdhsa_next_free_vgpr 86
		.amdhsa_next_free_sgpr 32
		.amdhsa_reserve_vcc 1
		.amdhsa_float_round_mode_32 0
		.amdhsa_float_round_mode_16_64 0
		.amdhsa_float_denorm_mode_32 3
		.amdhsa_float_denorm_mode_16_64 3
		.amdhsa_fp16_overflow 0
		.amdhsa_workgroup_processor_mode 1
		.amdhsa_memory_ordered 1
		.amdhsa_forward_progress 0
		.amdhsa_round_robin_scheduling 0
		.amdhsa_exception_fp_ieee_invalid_op 0
		.amdhsa_exception_fp_denorm_src 0
		.amdhsa_exception_fp_ieee_div_zero 0
		.amdhsa_exception_fp_ieee_overflow 0
		.amdhsa_exception_fp_ieee_underflow 0
		.amdhsa_exception_fp_ieee_inexact 0
		.amdhsa_exception_int_div_zero 0
	.end_amdhsa_kernel
	.text
.Lfunc_end0:
	.size	fft_rtc_back_len3072_factors_6_4_4_4_4_2_wgs_256_tpt_256_halfLds_half_ip_CI_unitstride_sbrr_R2C_dirReg, .Lfunc_end0-fft_rtc_back_len3072_factors_6_4_4_4_4_2_wgs_256_tpt_256_halfLds_half_ip_CI_unitstride_sbrr_R2C_dirReg
                                        ; -- End function
	.section	.AMDGPU.csdata,"",@progbits
; Kernel info:
; codeLenInByte = 9668
; NumSgprs: 34
; NumVgprs: 86
; ScratchSize: 0
; MemoryBound: 0
; FloatMode: 240
; IeeeMode: 1
; LDSByteSize: 0 bytes/workgroup (compile time only)
; SGPRBlocks: 4
; VGPRBlocks: 10
; NumSGPRsForWavesPerEU: 34
; NumVGPRsForWavesPerEU: 86
; Occupancy: 16
; WaveLimiterHint : 1
; COMPUTE_PGM_RSRC2:SCRATCH_EN: 0
; COMPUTE_PGM_RSRC2:USER_SGPR: 2
; COMPUTE_PGM_RSRC2:TRAP_HANDLER: 0
; COMPUTE_PGM_RSRC2:TGID_X_EN: 1
; COMPUTE_PGM_RSRC2:TGID_Y_EN: 0
; COMPUTE_PGM_RSRC2:TGID_Z_EN: 0
; COMPUTE_PGM_RSRC2:TIDIG_COMP_CNT: 0
	.text
	.p2alignl 7, 3214868480
	.fill 96, 4, 3214868480
	.type	__hip_cuid_869d5dcd36f47eda,@object ; @__hip_cuid_869d5dcd36f47eda
	.section	.bss,"aw",@nobits
	.globl	__hip_cuid_869d5dcd36f47eda
__hip_cuid_869d5dcd36f47eda:
	.byte	0                               ; 0x0
	.size	__hip_cuid_869d5dcd36f47eda, 1

	.ident	"AMD clang version 19.0.0git (https://github.com/RadeonOpenCompute/llvm-project roc-6.4.0 25133 c7fe45cf4b819c5991fe208aaa96edf142730f1d)"
	.section	".note.GNU-stack","",@progbits
	.addrsig
	.addrsig_sym __hip_cuid_869d5dcd36f47eda
	.amdgpu_metadata
---
amdhsa.kernels:
  - .args:
      - .actual_access:  read_only
        .address_space:  global
        .offset:         0
        .size:           8
        .value_kind:     global_buffer
      - .offset:         8
        .size:           8
        .value_kind:     by_value
      - .actual_access:  read_only
        .address_space:  global
        .offset:         16
        .size:           8
        .value_kind:     global_buffer
      - .actual_access:  read_only
        .address_space:  global
        .offset:         24
        .size:           8
        .value_kind:     global_buffer
      - .offset:         32
        .size:           8
        .value_kind:     by_value
      - .actual_access:  read_only
        .address_space:  global
        .offset:         40
        .size:           8
        .value_kind:     global_buffer
      - .actual_access:  read_only
        .address_space:  global
        .offset:         48
        .size:           8
        .value_kind:     global_buffer
      - .offset:         56
        .size:           4
        .value_kind:     by_value
      - .actual_access:  read_only
        .address_space:  global
        .offset:         64
        .size:           8
        .value_kind:     global_buffer
      - .actual_access:  read_only
        .address_space:  global
        .offset:         72
        .size:           8
        .value_kind:     global_buffer
      - .address_space:  global
        .offset:         80
        .size:           8
        .value_kind:     global_buffer
    .group_segment_fixed_size: 0
    .kernarg_segment_align: 8
    .kernarg_segment_size: 88
    .language:       OpenCL C
    .language_version:
      - 2
      - 0
    .max_flat_workgroup_size: 256
    .name:           fft_rtc_back_len3072_factors_6_4_4_4_4_2_wgs_256_tpt_256_halfLds_half_ip_CI_unitstride_sbrr_R2C_dirReg
    .private_segment_fixed_size: 0
    .sgpr_count:     34
    .sgpr_spill_count: 0
    .symbol:         fft_rtc_back_len3072_factors_6_4_4_4_4_2_wgs_256_tpt_256_halfLds_half_ip_CI_unitstride_sbrr_R2C_dirReg.kd
    .uniform_work_group_size: 1
    .uses_dynamic_stack: false
    .vgpr_count:     86
    .vgpr_spill_count: 0
    .wavefront_size: 32
    .workgroup_processor_mode: 1
amdhsa.target:   amdgcn-amd-amdhsa--gfx1201
amdhsa.version:
  - 1
  - 2
...

	.end_amdgpu_metadata
